;; amdgpu-corpus repo=ROCm/rocFFT kind=compiled arch=gfx1201 opt=O3
	.text
	.amdgcn_target "amdgcn-amd-amdhsa--gfx1201"
	.amdhsa_code_object_version 6
	.protected	bluestein_single_back_len315_dim1_dp_op_CI_CI ; -- Begin function bluestein_single_back_len315_dim1_dp_op_CI_CI
	.globl	bluestein_single_back_len315_dim1_dp_op_CI_CI
	.p2align	8
	.type	bluestein_single_back_len315_dim1_dp_op_CI_CI,@function
bluestein_single_back_len315_dim1_dp_op_CI_CI: ; @bluestein_single_back_len315_dim1_dp_op_CI_CI
; %bb.0:
	s_load_b128 s[8:11], s[0:1], 0x28
	v_mul_u32_u24_e32 v1, 0x411, v0
	s_mov_b32 s2, exec_lo
	v_mov_b32_e32 v77, 0
	s_delay_alu instid0(VALU_DEP_2) | instskip(NEXT) | instid1(VALU_DEP_1)
	v_lshrrev_b32_e32 v1, 16, v1
	v_add_nc_u32_e32 v76, ttmp9, v1
	s_wait_kmcnt 0x0
	s_delay_alu instid0(VALU_DEP_1)
	v_cmpx_gt_u64_e64 s[8:9], v[76:77]
	s_cbranch_execz .LBB0_31
; %bb.1:
	s_clause 0x1
	s_load_b64 s[12:13], s[0:1], 0x0
	s_load_b64 s[8:9], s[0:1], 0x38
	v_mul_lo_u16 v1, v1, 63
	s_delay_alu instid0(VALU_DEP_1) | instskip(NEXT) | instid1(VALU_DEP_1)
	v_sub_nc_u16 v0, v0, v1
	v_and_b32_e32 v97, 0xffff, v0
	v_cmp_gt_u16_e32 vcc_lo, 45, v0
	s_delay_alu instid0(VALU_DEP_2)
	v_lshlrev_b32_e32 v98, 4, v97
	s_and_saveexec_b32 s3, vcc_lo
	s_cbranch_execz .LBB0_3
; %bb.2:
	s_load_b64 s[4:5], s[0:1], 0x18
	s_wait_kmcnt 0x0
	s_load_b128 s[4:7], s[4:5], 0x0
	s_wait_kmcnt 0x0
	v_mad_co_u64_u32 v[0:1], null, s6, v76, 0
	v_mad_co_u64_u32 v[2:3], null, s4, v97, 0
	s_delay_alu instid0(VALU_DEP_1) | instskip(NEXT) | instid1(VALU_DEP_1)
	v_mad_co_u64_u32 v[4:5], null, s7, v76, v[1:2]
	v_mad_co_u64_u32 v[5:6], null, s5, v97, v[3:4]
	v_mov_b32_e32 v1, v4
	s_mul_u64 s[4:5], s[4:5], 0x2d0
	s_delay_alu instid0(VALU_DEP_1) | instskip(NEXT) | instid1(VALU_DEP_3)
	v_lshlrev_b64_e32 v[0:1], 4, v[0:1]
	v_mov_b32_e32 v3, v5
	s_delay_alu instid0(VALU_DEP_2) | instskip(NEXT) | instid1(VALU_DEP_2)
	v_add_co_u32 v0, s2, s10, v0
	v_lshlrev_b64_e32 v[2:3], 4, v[2:3]
	s_delay_alu instid0(VALU_DEP_4) | instskip(NEXT) | instid1(VALU_DEP_2)
	v_add_co_ci_u32_e64 v1, s2, s11, v1, s2
	v_add_co_u32 v16, s2, v0, v2
	s_wait_alu 0xf1ff
	s_delay_alu instid0(VALU_DEP_2)
	v_add_co_ci_u32_e64 v17, s2, v1, v3, s2
	s_clause 0x1
	global_load_b128 v[0:3], v98, s[12:13]
	global_load_b128 v[4:7], v98, s[12:13] offset:720
	s_wait_alu 0xfffe
	v_add_co_u32 v20, s2, v16, s4
	s_wait_alu 0xf1ff
	v_add_co_ci_u32_e64 v21, s2, s5, v17, s2
	s_clause 0x1
	global_load_b128 v[8:11], v98, s[12:13] offset:1440
	global_load_b128 v[12:15], v98, s[12:13] offset:2160
	v_add_co_u32 v24, s2, v20, s4
	s_wait_alu 0xf1ff
	v_add_co_ci_u32_e64 v25, s2, s5, v21, s2
	s_clause 0x1
	global_load_b128 v[16:19], v[16:17], off
	global_load_b128 v[20:23], v[20:21], off
	v_add_co_u32 v28, s2, v24, s4
	s_wait_alu 0xf1ff
	v_add_co_ci_u32_e64 v29, s2, s5, v25, s2
	s_delay_alu instid0(VALU_DEP_2) | instskip(SKIP_1) | instid1(VALU_DEP_2)
	v_add_co_u32 v32, s2, v28, s4
	s_wait_alu 0xf1ff
	v_add_co_ci_u32_e64 v33, s2, s5, v29, s2
	s_clause 0x1
	global_load_b128 v[24:27], v[24:25], off
	global_load_b128 v[28:31], v[28:29], off
	v_add_co_u32 v44, s2, v32, s4
	s_wait_alu 0xf1ff
	v_add_co_ci_u32_e64 v45, s2, s5, v33, s2
	global_load_b128 v[32:35], v[32:33], off
	v_add_co_u32 v52, s2, v44, s4
	s_wait_alu 0xf1ff
	v_add_co_ci_u32_e64 v53, s2, s5, v45, s2
	s_clause 0x1
	global_load_b128 v[36:39], v98, s[12:13] offset:2880
	global_load_b128 v[40:43], v98, s[12:13] offset:3600
	global_load_b128 v[44:47], v[44:45], off
	global_load_b128 v[48:51], v98, s[12:13] offset:4320
	global_load_b128 v[52:55], v[52:53], off
	s_wait_loadcnt 0x9
	v_mul_f64_e32 v[56:57], v[18:19], v[2:3]
	v_mul_f64_e32 v[2:3], v[16:17], v[2:3]
	s_wait_loadcnt 0x8
	v_mul_f64_e32 v[58:59], v[22:23], v[6:7]
	v_mul_f64_e32 v[6:7], v[20:21], v[6:7]
	;; [unrolled: 3-line block ×7, first 2 shown]
	v_fma_f64 v[14:15], v[16:17], v[0:1], v[56:57]
	v_fma_f64 v[16:17], v[18:19], v[0:1], -v[2:3]
	v_fma_f64 v[0:1], v[20:21], v[4:5], v[58:59]
	v_fma_f64 v[2:3], v[22:23], v[4:5], -v[6:7]
	;; [unrolled: 2-line block ×7, first 2 shown]
	ds_store_b128 v98, v[14:17]
	ds_store_b128 v98, v[0:3] offset:720
	ds_store_b128 v98, v[4:7] offset:1440
	;; [unrolled: 1-line block ×6, first 2 shown]
.LBB0_3:
	s_or_b32 exec_lo, exec_lo, s3
	global_wb scope:SCOPE_SE
	s_wait_dscnt 0x0
	s_wait_kmcnt 0x0
	s_barrier_signal -1
	s_barrier_wait -1
	global_inv scope:SCOPE_SE
                                        ; implicit-def: $vgpr0_vgpr1
                                        ; implicit-def: $vgpr4_vgpr5
                                        ; implicit-def: $vgpr8_vgpr9
                                        ; implicit-def: $vgpr12_vgpr13
                                        ; implicit-def: $vgpr16_vgpr17
                                        ; implicit-def: $vgpr20_vgpr21
                                        ; implicit-def: $vgpr24_vgpr25
	s_and_saveexec_b32 s2, vcc_lo
	s_cbranch_execz .LBB0_5
; %bb.4:
	ds_load_b128 v[0:3], v98
	ds_load_b128 v[4:7], v98 offset:720
	ds_load_b128 v[8:11], v98 offset:1440
	;; [unrolled: 1-line block ×6, first 2 shown]
.LBB0_5:
	s_wait_alu 0xfffe
	s_or_b32 exec_lo, exec_lo, s2
	s_wait_dscnt 0x0
	v_add_f64_e32 v[28:29], v[4:5], v[24:25]
	v_add_f64_e32 v[30:31], v[6:7], v[26:27]
	;; [unrolled: 1-line block ×4, first 2 shown]
	v_add_f64_e64 v[8:9], v[8:9], -v[20:21]
	v_add_f64_e64 v[10:11], v[10:11], -v[22:23]
	v_add_f64_e32 v[20:21], v[12:13], v[16:17]
	v_add_f64_e32 v[22:23], v[14:15], v[18:19]
	v_add_f64_e64 v[12:13], v[16:17], -v[12:13]
	v_add_f64_e64 v[14:15], v[18:19], -v[14:15]
	;; [unrolled: 1-line block ×4, first 2 shown]
	s_mov_b32 s4, 0xe976ee23
	s_mov_b32 s2, 0x36b3c0b5
	;; [unrolled: 1-line block ×10, first 2 shown]
	v_mul_lo_u16 v100, v97, 7
	v_add_f64_e32 v[16:17], v[32:33], v[28:29]
	v_add_f64_e32 v[18:19], v[34:35], v[30:31]
	v_add_f64_e64 v[24:25], v[20:21], -v[32:33]
	v_add_f64_e64 v[26:27], v[22:23], -v[34:35]
	;; [unrolled: 1-line block ×6, first 2 shown]
	v_add_f64_e32 v[8:9], v[12:13], v[8:9]
	v_add_f64_e32 v[10:11], v[14:15], v[10:11]
	v_add_f64_e64 v[12:13], v[4:5], -v[12:13]
	v_add_f64_e64 v[14:15], v[6:7], -v[14:15]
	v_add_f64_e32 v[16:17], v[20:21], v[16:17]
	v_add_f64_e32 v[18:19], v[22:23], v[18:19]
	v_add_f64_e64 v[20:21], v[28:29], -v[20:21]
	v_add_f64_e64 v[22:23], v[30:31], -v[22:23]
	v_add_f64_e64 v[28:29], v[32:33], -v[28:29]
	v_add_f64_e64 v[30:31], v[34:35], -v[30:31]
	s_wait_alu 0xfffe
	v_mul_f64_e32 v[36:37], s[4:5], v[36:37]
	v_mul_f64_e32 v[38:39], s[4:5], v[38:39]
	s_mov_b32 s4, 0x37e14327
	v_mul_f64_e32 v[32:33], s[2:3], v[24:25]
	v_mul_f64_e32 v[34:35], s[2:3], v[26:27]
	s_mov_b32 s5, 0x3fe948f6
	v_mul_f64_e32 v[44:45], s[6:7], v[40:41]
	v_mul_f64_e32 v[46:47], s[6:7], v[42:43]
	v_add_f64_e32 v[8:9], v[8:9], v[4:5]
	v_add_f64_e32 v[10:11], v[10:11], v[6:7]
	;; [unrolled: 1-line block ×4, first 2 shown]
	s_wait_alu 0xfffe
	v_mul_f64_e32 v[20:21], s[4:5], v[20:21]
	v_mul_f64_e32 v[22:23], s[4:5], v[22:23]
	s_mov_b32 s4, 0xaaaaaaaa
	s_mov_b32 s5, 0xbff2aaaa
	v_fma_f64 v[4:5], v[12:13], s[14:15], v[36:37]
	v_fma_f64 v[48:49], v[14:15], s[14:15], v[38:39]
	s_mov_b32 s15, 0xbfd5d0dc
	v_fma_f64 v[32:33], v[28:29], s[10:11], -v[32:33]
	v_fma_f64 v[34:35], v[30:31], s[10:11], -v[34:35]
	s_mov_b32 s11, 0xbfe77f67
	v_fma_f64 v[36:37], v[40:41], s[6:7], -v[36:37]
	v_fma_f64 v[38:39], v[42:43], s[6:7], -v[38:39]
	s_wait_alu 0xfffe
	v_fma_f64 v[12:13], v[12:13], s[14:15], -v[44:45]
	v_fma_f64 v[14:15], v[14:15], s[14:15], -v[46:47]
	v_fma_f64 v[16:17], v[16:17], s[4:5], v[0:1]
	v_fma_f64 v[18:19], v[18:19], s[4:5], v[2:3]
	v_fma_f64 v[40:41], v[28:29], s[10:11], -v[20:21]
	v_fma_f64 v[30:31], v[30:31], s[10:11], -v[22:23]
	v_fma_f64 v[20:21], v[24:25], s[2:3], v[20:21]
	v_fma_f64 v[22:23], v[26:27], s[2:3], v[22:23]
	s_mov_b32 s2, 0x37c3f68c
	s_mov_b32 s3, 0x3fdc38aa
	s_wait_alu 0xfffe
	v_fma_f64 v[6:7], v[8:9], s[2:3], v[4:5]
	v_fma_f64 v[4:5], v[10:11], s[2:3], v[48:49]
	;; [unrolled: 1-line block ×6, first 2 shown]
	s_clause 0x1
	s_load_b64 s[4:5], s[0:1], 0x20
	s_load_b64 s[2:3], s[0:1], 0x8
	global_wb scope:SCOPE_SE
	s_wait_kmcnt 0x0
	s_barrier_signal -1
	s_barrier_wait -1
	global_inv scope:SCOPE_SE
	v_add_f64_e32 v[32:33], v[32:33], v[16:17]
	v_add_f64_e32 v[34:35], v[34:35], v[18:19]
	;; [unrolled: 1-line block ×6, first 2 shown]
	v_add_f64_e64 v[16:17], v[32:33], -v[26:27]
	v_add_f64_e32 v[18:19], v[24:25], v[34:35]
	v_add_f64_e32 v[20:21], v[32:33], v[26:27]
	v_add_f64_e64 v[22:23], v[34:35], -v[24:25]
	v_add_f64_e64 v[24:25], v[10:11], -v[8:9]
	v_add_f64_e32 v[26:27], v[28:29], v[30:31]
	v_add_f64_e64 v[48:49], v[12:13], -v[4:5]
	v_add_f64_e32 v[50:51], v[6:7], v[14:15]
	s_and_saveexec_b32 s0, vcc_lo
	s_cbranch_execz .LBB0_7
; %bb.6:
	v_add_f64_e64 v[6:7], v[14:15], -v[6:7]
	v_add_f64_e32 v[4:5], v[12:13], v[4:5]
	v_add_f64_e64 v[30:31], v[30:31], -v[28:29]
	v_add_f64_e32 v[28:29], v[10:11], v[8:9]
	v_and_b32_e32 v8, 0xffff, v100
	s_delay_alu instid0(VALU_DEP_1)
	v_lshlrev_b32_e32 v8, 4, v8
	ds_store_b128 v8, v[20:23] offset:64
	ds_store_b128 v8, v[24:27] offset:80
	ds_store_b128 v8, v[0:3]
	ds_store_b128 v8, v[4:7] offset:16
	ds_store_b128 v8, v[28:31] offset:32
	;; [unrolled: 1-line block ×4, first 2 shown]
.LBB0_7:
	s_wait_alu 0xfffe
	s_or_b32 exec_lo, exec_lo, s0
	global_wb scope:SCOPE_SE
	s_wait_dscnt 0x0
	s_barrier_signal -1
	s_barrier_wait -1
	global_inv scope:SCOPE_SE
	ds_load_b128 v[28:31], v98
	ds_load_b128 v[32:35], v98 offset:1680
	ds_load_b128 v[36:39], v98 offset:3360
	v_cmp_gt_u16_e64 s0, 42, v97
	s_delay_alu instid0(VALU_DEP_1)
	s_and_saveexec_b32 s1, s0
	s_cbranch_execz .LBB0_9
; %bb.8:
	ds_load_b128 v[16:19], v98 offset:1008
	ds_load_b128 v[20:23], v98 offset:2688
	;; [unrolled: 1-line block ×3, first 2 shown]
.LBB0_9:
	s_wait_alu 0xfffe
	s_or_b32 exec_lo, exec_lo, s1
	v_add_nc_u16 v60, v97, 63
	v_and_b32_e32 v62, 0xff, v97
	s_mov_b32 s6, 0xe8584caa
	s_mov_b32 s7, 0x3febb67a
	;; [unrolled: 1-line block ×3, first 2 shown]
	v_and_b32_e32 v61, 0xff, v60
	v_mul_lo_u16 v0, v62, 37
	s_wait_alu 0xfffe
	s_mov_b32 s10, s6
	s_delay_alu instid0(VALU_DEP_2) | instskip(NEXT) | instid1(VALU_DEP_2)
	v_mul_lo_u16 v1, v61, 37
	v_lshrrev_b16 v0, 8, v0
	s_delay_alu instid0(VALU_DEP_2) | instskip(NEXT) | instid1(VALU_DEP_2)
	v_lshrrev_b16 v1, 8, v1
	v_sub_nc_u16 v2, v97, v0
	s_delay_alu instid0(VALU_DEP_2) | instskip(NEXT) | instid1(VALU_DEP_2)
	v_sub_nc_u16 v3, v60, v1
	v_lshrrev_b16 v2, 1, v2
	s_delay_alu instid0(VALU_DEP_2) | instskip(NEXT) | instid1(VALU_DEP_2)
	v_lshrrev_b16 v3, 1, v3
	v_and_b32_e32 v2, 0x7f, v2
	s_delay_alu instid0(VALU_DEP_2) | instskip(NEXT) | instid1(VALU_DEP_2)
	v_and_b32_e32 v3, 0x7f, v3
	v_add_nc_u16 v0, v2, v0
	s_delay_alu instid0(VALU_DEP_2) | instskip(NEXT) | instid1(VALU_DEP_2)
	v_add_nc_u16 v1, v3, v1
	v_lshrrev_b16 v65, 2, v0
	s_delay_alu instid0(VALU_DEP_2) | instskip(NEXT) | instid1(VALU_DEP_2)
	v_lshrrev_b16 v66, 2, v1
	v_mul_lo_u16 v0, v65, 7
	s_delay_alu instid0(VALU_DEP_2) | instskip(NEXT) | instid1(VALU_DEP_2)
	v_mul_lo_u16 v1, v66, 7
	v_sub_nc_u16 v0, v97, v0
	v_and_b32_e32 v103, 0xffff, v66
	s_delay_alu instid0(VALU_DEP_3) | instskip(NEXT) | instid1(VALU_DEP_3)
	v_sub_nc_u16 v1, v60, v1
	v_and_b32_e32 v67, 0xff, v0
	s_delay_alu instid0(VALU_DEP_2) | instskip(NEXT) | instid1(VALU_DEP_2)
	v_and_b32_e32 v99, 0xff, v1
	v_lshlrev_b32_e32 v0, 5, v67
	s_delay_alu instid0(VALU_DEP_2)
	v_lshlrev_b32_e32 v8, 5, v99
	s_clause 0x3
	global_load_b128 v[4:7], v0, s[2:3]
	global_load_b128 v[0:3], v0, s[2:3] offset:16
	global_load_b128 v[12:15], v8, s[2:3]
	global_load_b128 v[8:11], v8, s[2:3] offset:16
	s_wait_loadcnt_dscnt 0x301
	v_mul_f64_e32 v[40:41], v[34:35], v[6:7]
	s_wait_loadcnt_dscnt 0x200
	v_mul_f64_e32 v[42:43], v[38:39], v[2:3]
	v_mul_f64_e32 v[44:45], v[32:33], v[6:7]
	;; [unrolled: 1-line block ×3, first 2 shown]
	s_wait_loadcnt 0x1
	v_mul_f64_e32 v[52:53], v[22:23], v[14:15]
	s_wait_loadcnt 0x0
	v_mul_f64_e32 v[54:55], v[26:27], v[10:11]
	v_mul_f64_e32 v[56:57], v[20:21], v[14:15]
	;; [unrolled: 1-line block ×3, first 2 shown]
	v_fma_f64 v[32:33], v[32:33], v[4:5], -v[40:41]
	v_fma_f64 v[36:37], v[36:37], v[0:1], -v[42:43]
	v_fma_f64 v[34:35], v[34:35], v[4:5], v[44:45]
	v_fma_f64 v[38:39], v[38:39], v[0:1], v[46:47]
	v_fma_f64 v[20:21], v[20:21], v[12:13], -v[52:53]
	v_fma_f64 v[24:25], v[24:25], v[8:9], -v[54:55]
	v_fma_f64 v[22:23], v[22:23], v[12:13], v[56:57]
	v_fma_f64 v[26:27], v[26:27], v[8:9], v[58:59]
	v_add_f64_e32 v[52:53], v[28:29], v[32:33]
	v_add_f64_e32 v[40:41], v[32:33], v[36:37]
	;; [unrolled: 1-line block ×3, first 2 shown]
	v_add_f64_e64 v[54:55], v[34:35], -v[38:39]
	v_add_f64_e32 v[44:45], v[20:21], v[24:25]
	v_add_f64_e32 v[34:35], v[30:31], v[34:35]
	;; [unrolled: 1-line block ×5, first 2 shown]
	v_add_f64_e64 v[63:64], v[20:21], -v[24:25]
	v_fma_f64 v[28:29], v[40:41], -0.5, v[28:29]
	v_add_f64_e64 v[40:41], v[32:33], -v[36:37]
	v_fma_f64 v[30:31], v[42:43], -0.5, v[30:31]
	;; [unrolled: 2-line block ×3, first 2 shown]
	v_add_f64_e32 v[16:17], v[52:53], v[36:37]
	v_fma_f64 v[46:47], v[46:47], -0.5, v[18:19]
	v_add_f64_e32 v[18:19], v[34:35], v[38:39]
	v_add_f64_e32 v[32:33], v[56:57], v[24:25]
	;; [unrolled: 1-line block ×3, first 2 shown]
	v_fma_f64 v[20:21], v[54:55], s[6:7], v[28:29]
	s_wait_alu 0xfffe
	v_fma_f64 v[24:25], v[54:55], s[10:11], v[28:29]
	v_fma_f64 v[22:23], v[40:41], s[10:11], v[30:31]
	;; [unrolled: 1-line block ×7, first 2 shown]
	s_load_b128 s[4:7], s[4:5], 0x0
	v_and_b32_e32 v28, 0xffff, v65
	global_wb scope:SCOPE_SE
	s_wait_kmcnt 0x0
	s_barrier_signal -1
	s_barrier_wait -1
	global_inv scope:SCOPE_SE
	v_mul_u32_u24_e32 v28, 21, v28
	s_delay_alu instid0(VALU_DEP_1)
	v_add_lshl_u32 v102, v28, v67, 4
	ds_store_b128 v102, v[16:19]
	ds_store_b128 v102, v[20:23] offset:112
	ds_store_b128 v102, v[24:27] offset:224
	s_and_saveexec_b32 s1, s0
	s_cbranch_execz .LBB0_11
; %bb.10:
	v_mul_u32_u24_e32 v16, 21, v103
	s_delay_alu instid0(VALU_DEP_1)
	v_add_lshl_u32 v16, v16, v99, 4
	ds_store_b128 v16, v[32:35]
	ds_store_b128 v16, v[36:39] offset:112
	ds_store_b128 v16, v[40:43] offset:224
.LBB0_11:
	s_wait_alu 0xfffe
	s_or_b32 exec_lo, exec_lo, s1
	global_wb scope:SCOPE_SE
	s_wait_dscnt 0x0
	s_barrier_signal -1
	s_barrier_wait -1
	global_inv scope:SCOPE_SE
	ds_load_b128 v[44:47], v98
	ds_load_b128 v[56:59], v98 offset:1680
	ds_load_b128 v[52:55], v98 offset:3360
	s_and_saveexec_b32 s1, s0
	s_cbranch_execz .LBB0_13
; %bb.12:
	ds_load_b128 v[32:35], v98 offset:1008
	ds_load_b128 v[36:39], v98 offset:2688
	ds_load_b128 v[40:43], v98 offset:4368
.LBB0_13:
	s_wait_alu 0xfffe
	s_or_b32 exec_lo, exec_lo, s1
	v_mul_lo_u16 v16, 0x87, v62
	v_mul_lo_u16 v17, 0x87, v61
	s_mov_b32 s10, 0xe8584caa
	s_mov_b32 s11, 0x3febb67a
	;; [unrolled: 1-line block ×3, first 2 shown]
	v_lshrrev_b16 v16, 8, v16
	v_lshrrev_b16 v17, 8, v17
	s_wait_alu 0xfffe
	s_mov_b32 s14, s10
	s_delay_alu instid0(VALU_DEP_2) | instskip(NEXT) | instid1(VALU_DEP_2)
	v_sub_nc_u16 v18, v97, v16
	v_sub_nc_u16 v19, v60, v17
	s_delay_alu instid0(VALU_DEP_2) | instskip(NEXT) | instid1(VALU_DEP_2)
	v_lshrrev_b16 v18, 1, v18
	v_lshrrev_b16 v19, 1, v19
	s_delay_alu instid0(VALU_DEP_2) | instskip(NEXT) | instid1(VALU_DEP_2)
	v_and_b32_e32 v18, 0x7f, v18
	v_and_b32_e32 v19, 0x7f, v19
	s_delay_alu instid0(VALU_DEP_2) | instskip(NEXT) | instid1(VALU_DEP_2)
	v_add_nc_u16 v16, v18, v16
	v_add_nc_u16 v17, v19, v17
	s_delay_alu instid0(VALU_DEP_2) | instskip(NEXT) | instid1(VALU_DEP_2)
	v_lshrrev_b16 v16, 4, v16
	v_lshrrev_b16 v17, 4, v17
	s_delay_alu instid0(VALU_DEP_2) | instskip(NEXT) | instid1(VALU_DEP_2)
	v_and_b32_e32 v81, 15, v16
	v_and_b32_e32 v82, 15, v17
	s_delay_alu instid0(VALU_DEP_2) | instskip(NEXT) | instid1(VALU_DEP_2)
	v_mul_lo_u16 v16, v81, 21
	v_mul_lo_u16 v17, v82, 21
	v_and_b32_e32 v104, 0xffff, v82
	s_delay_alu instid0(VALU_DEP_3) | instskip(NEXT) | instid1(VALU_DEP_3)
	v_sub_nc_u16 v83, v97, v16
	v_sub_nc_u16 v16, v60, v17
	s_delay_alu instid0(VALU_DEP_2) | instskip(NEXT) | instid1(VALU_DEP_2)
	v_and_b32_e32 v17, 0xff, v83
	v_and_b32_e32 v101, 0xff, v16
	s_delay_alu instid0(VALU_DEP_2) | instskip(NEXT) | instid1(VALU_DEP_2)
	v_lshlrev_b32_e32 v16, 5, v17
	v_lshlrev_b32_e32 v17, 5, v101
	s_clause 0x3
	global_load_b128 v[28:31], v16, s[2:3] offset:224
	global_load_b128 v[24:27], v16, s[2:3] offset:240
	;; [unrolled: 1-line block ×4, first 2 shown]
	global_wb scope:SCOPE_SE
	s_wait_loadcnt_dscnt 0x0
	s_barrier_signal -1
	s_barrier_wait -1
	global_inv scope:SCOPE_SE
	v_mul_f64_e32 v[60:61], v[58:59], v[30:31]
	v_mul_f64_e32 v[62:63], v[56:57], v[30:31]
	v_mul_f64_e32 v[64:65], v[54:55], v[26:27]
	v_mul_f64_e32 v[66:67], v[52:53], v[26:27]
	v_mul_f64_e32 v[68:69], v[38:39], v[22:23]
	v_mul_f64_e32 v[70:71], v[36:37], v[22:23]
	v_mul_f64_e32 v[72:73], v[42:43], v[18:19]
	v_mul_f64_e32 v[74:75], v[40:41], v[18:19]
	v_fma_f64 v[60:61], v[56:57], v[28:29], -v[60:61]
	v_fma_f64 v[62:63], v[58:59], v[28:29], v[62:63]
	v_fma_f64 v[52:53], v[52:53], v[24:25], -v[64:65]
	v_fma_f64 v[54:55], v[54:55], v[24:25], v[66:67]
	v_fma_f64 v[56:57], v[36:37], v[20:21], -v[68:69]
	v_fma_f64 v[58:59], v[38:39], v[20:21], v[70:71]
	v_fma_f64 v[36:37], v[40:41], v[16:17], -v[72:73]
	v_fma_f64 v[38:39], v[42:43], v[16:17], v[74:75]
	v_add_f64_e32 v[70:71], v[44:45], v[60:61]
	v_add_f64_e32 v[40:41], v[60:61], v[52:53]
	v_add_f64_e32 v[64:65], v[62:63], v[54:55]
	v_add_f64_e64 v[72:73], v[62:63], -v[54:55]
	v_add_f64_e32 v[62:63], v[46:47], v[62:63]
	v_add_f64_e32 v[66:67], v[56:57], v[36:37]
	;; [unrolled: 1-line block ×3, first 2 shown]
	v_add_f64_e64 v[42:43], v[58:59], -v[38:39]
	v_add_f64_e64 v[74:75], v[60:61], -v[52:53]
	v_add_f64_e32 v[60:61], v[70:71], v[52:53]
	v_fma_f64 v[77:78], v[40:41], -0.5, v[44:45]
	v_fma_f64 v[79:80], v[64:65], -0.5, v[46:47]
	v_add_f64_e64 v[46:47], v[56:57], -v[36:37]
	v_add_f64_e32 v[62:63], v[62:63], v[54:55]
	v_fma_f64 v[40:41], v[66:67], -0.5, v[32:33]
	v_fma_f64 v[44:45], v[68:69], -0.5, v[34:35]
	v_fma_f64 v[64:65], v[72:73], s[10:11], v[77:78]
	s_wait_alu 0xfffe
	v_fma_f64 v[66:67], v[74:75], s[14:15], v[79:80]
	v_fma_f64 v[68:69], v[72:73], s[14:15], v[77:78]
	;; [unrolled: 1-line block ×5, first 2 shown]
	v_mad_u16 v72, v81, 63, v83
	s_delay_alu instid0(VALU_DEP_1) | instskip(NEXT) | instid1(VALU_DEP_1)
	v_and_b32_e32 v72, 0xff, v72
	v_lshlrev_b32_e32 v105, 4, v72
	ds_store_b128 v105, v[60:63]
	ds_store_b128 v105, v[64:67] offset:336
	ds_store_b128 v105, v[68:71] offset:672
	s_and_saveexec_b32 s1, s0
	s_cbranch_execz .LBB0_15
; %bb.14:
	v_add_f64_e32 v[58:59], v[34:35], v[58:59]
	v_add_f64_e32 v[32:33], v[32:33], v[56:57]
	v_mul_f64_e32 v[46:47], s[10:11], v[46:47]
	v_mul_f64_e32 v[42:43], s[10:11], v[42:43]
	s_delay_alu instid0(VALU_DEP_4) | instskip(NEXT) | instid1(VALU_DEP_4)
	v_add_f64_e32 v[38:39], v[58:59], v[38:39]
	v_add_f64_e32 v[36:37], v[32:33], v[36:37]
	s_delay_alu instid0(VALU_DEP_4) | instskip(NEXT) | instid1(VALU_DEP_4)
	v_add_f64_e64 v[34:35], v[44:45], -v[46:47]
	v_add_f64_e32 v[32:33], v[42:43], v[40:41]
	v_mul_u32_u24_e32 v40, 63, v104
	s_delay_alu instid0(VALU_DEP_1)
	v_add_lshl_u32 v40, v40, v101, 4
	ds_store_b128 v40, v[36:39]
	ds_store_b128 v40, v[32:35] offset:336
	ds_store_b128 v40, v[52:55] offset:672
.LBB0_15:
	s_wait_alu 0xfffe
	s_or_b32 exec_lo, exec_lo, s1
	v_lshlrev_b32_e32 v32, 6, v97
	global_wb scope:SCOPE_SE
	s_wait_dscnt 0x0
	s_barrier_signal -1
	s_barrier_wait -1
	global_inv scope:SCOPE_SE
	s_clause 0x3
	global_load_b128 v[44:47], v32, s[2:3] offset:896
	global_load_b128 v[40:43], v32, s[2:3] offset:912
	;; [unrolled: 1-line block ×4, first 2 shown]
	ds_load_b128 v[56:59], v98 offset:1008
	ds_load_b128 v[60:63], v98 offset:2016
	ds_load_b128 v[64:67], v98 offset:3024
	ds_load_b128 v[68:71], v98 offset:4032
	s_mov_b32 s2, 0x134454ff
	s_mov_b32 s3, 0x3fee6f0e
	;; [unrolled: 1-line block ×3, first 2 shown]
	s_wait_alu 0xfffe
	s_mov_b32 s10, s2
	s_wait_loadcnt_dscnt 0x303
	v_mul_f64_e32 v[72:73], v[58:59], v[46:47]
	s_wait_loadcnt_dscnt 0x202
	v_mul_f64_e32 v[74:75], v[62:63], v[42:43]
	;; [unrolled: 2-line block ×3, first 2 shown]
	v_mul_f64_e32 v[79:80], v[56:57], v[46:47]
	s_wait_loadcnt_dscnt 0x0
	v_mul_f64_e32 v[81:82], v[70:71], v[34:35]
	v_mul_f64_e32 v[83:84], v[60:61], v[42:43]
	;; [unrolled: 1-line block ×4, first 2 shown]
	v_fma_f64 v[72:73], v[56:57], v[44:45], -v[72:73]
	v_fma_f64 v[60:61], v[60:61], v[40:41], -v[74:75]
	;; [unrolled: 1-line block ×3, first 2 shown]
	v_fma_f64 v[74:75], v[58:59], v[44:45], v[79:80]
	v_fma_f64 v[68:69], v[68:69], v[32:33], -v[81:82]
	v_fma_f64 v[62:63], v[62:63], v[40:41], v[83:84]
	v_fma_f64 v[66:67], v[66:67], v[36:37], v[85:86]
	;; [unrolled: 1-line block ×3, first 2 shown]
	ds_load_b128 v[56:59], v98
	s_wait_dscnt 0x0
	v_add_f64_e32 v[85:86], v[56:57], v[72:73]
	v_add_f64_e32 v[77:78], v[60:61], v[64:65]
	;; [unrolled: 1-line block ×4, first 2 shown]
	v_add_f64_e64 v[93:94], v[72:73], -v[68:69]
	v_add_f64_e32 v[81:82], v[62:63], v[66:67]
	v_add_f64_e32 v[83:84], v[74:75], v[70:71]
	v_add_f64_e64 v[87:88], v[74:75], -v[70:71]
	v_add_f64_e64 v[89:90], v[62:63], -v[66:67]
	;; [unrolled: 1-line block ×8, first 2 shown]
	v_fma_f64 v[77:78], v[77:78], -0.5, v[56:57]
	v_add_f64_e32 v[62:63], v[91:92], v[62:63]
	v_fma_f64 v[56:57], v[79:80], -0.5, v[56:57]
	v_add_f64_e64 v[79:80], v[60:61], -v[64:65]
	v_fma_f64 v[81:82], v[81:82], -0.5, v[58:59]
	v_fma_f64 v[58:59], v[83:84], -0.5, v[58:59]
	v_add_f64_e64 v[83:84], v[72:73], -v[60:61]
	v_add_f64_e64 v[72:73], v[60:61], -v[72:73]
	v_add_f64_e32 v[60:61], v[85:86], v[60:61]
	v_add_f64_e32 v[74:75], v[74:75], v[112:113]
	v_fma_f64 v[85:86], v[87:88], s[2:3], v[77:78]
	s_wait_alu 0xfffe
	v_fma_f64 v[77:78], v[87:88], s[10:11], v[77:78]
	v_fma_f64 v[91:92], v[89:90], s[10:11], v[56:57]
	;; [unrolled: 1-line block ×7, first 2 shown]
	s_mov_b32 s2, 0x4755a5e
	s_mov_b32 s3, 0x3fe2cf23
	;; [unrolled: 1-line block ×3, first 2 shown]
	s_wait_alu 0xfffe
	s_mov_b32 s10, s2
	v_add_f64_e32 v[83:84], v[83:84], v[95:96]
	v_add_f64_e32 v[95:96], v[72:73], v[106:107]
	;; [unrolled: 1-line block ×5, first 2 shown]
	v_fma_f64 v[64:65], v[89:90], s[2:3], v[85:86]
	s_wait_alu 0xfffe
	v_fma_f64 v[66:67], v[89:90], s[10:11], v[77:78]
	v_fma_f64 v[77:78], v[87:88], s[2:3], v[91:92]
	;; [unrolled: 1-line block ×7, first 2 shown]
	s_mov_b32 s2, 0x372fe950
	s_mov_b32 s3, 0x3fd3c6ef
	v_add_f64_e32 v[56:57], v[60:61], v[68:69]
	v_add_f64_e32 v[58:59], v[62:63], v[70:71]
	s_wait_alu 0xfffe
	v_fma_f64 v[60:61], v[83:84], s[2:3], v[64:65]
	v_fma_f64 v[72:73], v[83:84], s[2:3], v[66:67]
	;; [unrolled: 1-line block ×8, first 2 shown]
	ds_store_b128 v98, v[56:59]
	ds_store_b128 v98, v[60:63] offset:1008
	ds_store_b128 v98, v[64:67] offset:2016
	;; [unrolled: 1-line block ×4, first 2 shown]
	global_wb scope:SCOPE_SE
	s_wait_dscnt 0x0
	s_barrier_signal -1
	s_barrier_wait -1
	global_inv scope:SCOPE_SE
	s_and_saveexec_b32 s1, vcc_lo
	s_cbranch_execz .LBB0_17
; %bb.16:
	s_add_nc_u64 s[2:3], s[12:13], 0x13b0
	s_clause 0x6
	global_load_b128 v[77:80], v98, s[12:13] offset:5040
	global_load_b128 v[81:84], v98, s[2:3] offset:720
	;; [unrolled: 1-line block ×7, first 2 shown]
	ds_load_b128 v[114:117], v98
	ds_load_b128 v[118:121], v98 offset:720
	ds_load_b128 v[122:125], v98 offset:1440
	;; [unrolled: 1-line block ×6, first 2 shown]
	s_wait_loadcnt_dscnt 0x606
	v_mul_f64_e32 v[142:143], v[116:117], v[79:80]
	v_mul_f64_e32 v[79:80], v[114:115], v[79:80]
	s_wait_loadcnt_dscnt 0x505
	v_mul_f64_e32 v[144:145], v[120:121], v[83:84]
	v_mul_f64_e32 v[83:84], v[118:119], v[83:84]
	;; [unrolled: 3-line block ×7, first 2 shown]
	v_fma_f64 v[112:113], v[114:115], v[77:78], -v[142:143]
	v_fma_f64 v[114:115], v[116:117], v[77:78], v[79:80]
	v_fma_f64 v[77:78], v[118:119], v[81:82], -v[144:145]
	v_fma_f64 v[79:80], v[120:121], v[81:82], v[83:84]
	;; [unrolled: 2-line block ×7, first 2 shown]
	ds_store_b128 v98, v[112:115]
	ds_store_b128 v98, v[77:80] offset:720
	ds_store_b128 v98, v[81:84] offset:1440
	;; [unrolled: 1-line block ×6, first 2 shown]
.LBB0_17:
	s_wait_alu 0xfffe
	s_or_b32 exec_lo, exec_lo, s1
	global_wb scope:SCOPE_SE
	s_wait_dscnt 0x0
	s_barrier_signal -1
	s_barrier_wait -1
	global_inv scope:SCOPE_SE
	s_and_saveexec_b32 s1, vcc_lo
	s_cbranch_execz .LBB0_19
; %bb.18:
	ds_load_b128 v[56:59], v98
	ds_load_b128 v[60:63], v98 offset:720
	ds_load_b128 v[64:67], v98 offset:1440
	;; [unrolled: 1-line block ×6, first 2 shown]
.LBB0_19:
	s_wait_alu 0xfffe
	s_or_b32 exec_lo, exec_lo, s1
	s_wait_dscnt 0x0
	v_add_f64_e32 v[77:78], v[60:61], v[48:49]
	v_add_f64_e32 v[79:80], v[62:63], v[50:51]
	v_add_f64_e32 v[81:82], v[64:65], v[52:53]
	v_add_f64_e32 v[83:84], v[66:67], v[54:55]
	v_add_f64_e64 v[52:53], v[64:65], -v[52:53]
	v_add_f64_e32 v[64:65], v[68:69], v[72:73]
	v_add_f64_e32 v[85:86], v[70:71], v[74:75]
	v_add_f64_e64 v[54:55], v[66:67], -v[54:55]
	v_add_f64_e64 v[66:67], v[72:73], -v[68:69]
	;; [unrolled: 1-line block ×5, first 2 shown]
	s_mov_b32 s10, 0x36b3c0b5
	s_mov_b32 s11, 0x3fac98ee
	;; [unrolled: 1-line block ×8, first 2 shown]
	global_wb scope:SCOPE_SE
	s_barrier_signal -1
	s_barrier_wait -1
	global_inv scope:SCOPE_SE
	v_add_f64_e32 v[68:69], v[81:82], v[77:78]
	v_add_f64_e32 v[72:73], v[83:84], v[79:80]
	v_add_f64_e64 v[108:109], v[81:82], -v[77:78]
	v_add_f64_e64 v[60:61], v[64:65], -v[81:82]
	;; [unrolled: 1-line block ×9, first 2 shown]
	v_add_f64_e32 v[52:53], v[66:67], v[52:53]
	v_add_f64_e32 v[54:55], v[70:71], v[54:55]
	v_add_f64_e64 v[77:78], v[50:51], -v[70:71]
	v_add_f64_e32 v[89:90], v[64:65], v[68:69]
	v_add_f64_e32 v[91:92], v[85:86], v[72:73]
	v_add_f64_e64 v[85:86], v[79:80], -v[85:86]
	s_wait_alu 0xfffe
	v_mul_f64_e32 v[64:65], s[10:11], v[60:61]
	v_mul_f64_e32 v[68:69], s[10:11], v[62:63]
	v_add_f64_e64 v[72:73], v[48:49], -v[66:67]
	v_mul_f64_e32 v[70:71], s[14:15], v[74:75]
	v_mul_f64_e32 v[66:67], s[14:15], v[87:88]
	v_mul_f64_e32 v[74:75], s[2:3], v[106:107]
	s_mov_b32 s15, 0x3fe77f67
	s_mov_b32 s14, 0x5476071b
	s_mov_b32 s10, 0xaaaaaaaa
	s_mov_b32 s11, 0xbff2aaaa
	v_add_f64_e32 v[87:88], v[54:55], v[50:51]
	v_add_f64_e32 v[60:61], v[56:57], v[89:90]
	;; [unrolled: 1-line block ×3, first 2 shown]
	v_mul_f64_e32 v[56:57], s[16:17], v[93:94]
	v_mul_f64_e32 v[58:59], s[16:17], v[95:96]
	;; [unrolled: 1-line block ×3, first 2 shown]
	s_mov_b32 s2, 0xb247c609
	s_mov_b32 s3, 0x3fd5d0dc
	v_add_f64_e32 v[85:86], v[52:53], v[48:49]
	s_wait_alu 0xfffe
	v_fma_f64 v[48:49], v[108:109], s[14:15], -v[64:65]
	v_fma_f64 v[50:51], v[110:111], s[14:15], -v[68:69]
	s_mov_b32 s15, 0xbfe77f67
	v_fma_f64 v[52:53], v[93:94], s[16:17], -v[70:71]
	v_fma_f64 v[54:55], v[95:96], s[16:17], -v[66:67]
	v_fma_f64 v[81:82], v[89:90], s[10:11], v[60:61]
	v_fma_f64 v[83:84], v[91:92], s[10:11], v[62:63]
	v_fma_f64 v[56:57], v[72:73], s[2:3], -v[56:57]
	v_fma_f64 v[58:59], v[77:78], s[2:3], -v[58:59]
	s_wait_alu 0xfffe
	v_fma_f64 v[91:92], v[108:109], s[14:15], -v[74:75]
	v_fma_f64 v[95:96], v[110:111], s[14:15], -v[79:80]
	s_mov_b32 s10, 0x37c3f68c
	s_mov_b32 s11, 0xbfdc38aa
	s_wait_alu 0xfffe
	v_fma_f64 v[106:107], v[85:86], s[10:11], v[52:53]
	v_fma_f64 v[52:53], v[87:88], s[10:11], v[54:55]
	v_add_f64_e32 v[54:55], v[48:49], v[81:82]
	v_add_f64_e32 v[108:109], v[50:51], v[83:84]
	v_fma_f64 v[93:94], v[85:86], s[10:11], v[56:57]
	v_fma_f64 v[89:90], v[87:88], s[10:11], v[58:59]
	v_add_f64_e32 v[91:92], v[91:92], v[81:82]
	v_add_f64_e32 v[95:96], v[95:96], v[83:84]
	v_add_f64_e64 v[48:49], v[54:55], -v[52:53]
	v_add_f64_e32 v[50:51], v[106:107], v[108:109]
	v_add_f64_e32 v[52:53], v[54:55], v[52:53]
	v_add_f64_e64 v[54:55], v[108:109], -v[106:107]
	v_add_f64_e64 v[56:57], v[91:92], -v[89:90]
	v_add_f64_e32 v[58:59], v[93:94], v[95:96]
	s_and_saveexec_b32 s1, vcc_lo
	s_cbranch_execz .LBB0_21
; %bb.20:
	s_mov_b32 s3, 0xbfd5d0dc
	v_mul_f64_e32 v[85:86], s[10:11], v[85:86]
	s_wait_alu 0xfffe
	v_mul_f64_e32 v[72:73], s[2:3], v[72:73]
	v_mul_f64_e32 v[77:78], s[2:3], v[77:78]
	;; [unrolled: 1-line block ×3, first 2 shown]
	v_add_f64_e32 v[68:69], v[68:69], v[79:80]
	v_add_f64_e32 v[64:65], v[64:65], v[74:75]
	;; [unrolled: 1-line block ×4, first 2 shown]
	s_delay_alu instid0(VALU_DEP_4) | instskip(NEXT) | instid1(VALU_DEP_4)
	v_add_f64_e32 v[68:69], v[68:69], v[83:84]
	v_add_f64_e32 v[77:78], v[64:65], v[81:82]
	;; [unrolled: 1-line block ×5, first 2 shown]
	v_add_f64_e64 v[66:67], v[95:96], -v[93:94]
	s_delay_alu instid0(VALU_DEP_3) | instskip(SKIP_1) | instid1(VALU_DEP_4)
	v_add_f64_e32 v[70:71], v[72:73], v[68:69]
	v_add_f64_e64 v[74:75], v[68:69], -v[72:73]
	v_add_f64_e32 v[72:73], v[77:78], v[79:80]
	v_add_f64_e64 v[68:69], v[77:78], -v[79:80]
	v_and_b32_e32 v77, 0xffff, v100
	s_delay_alu instid0(VALU_DEP_1)
	v_lshlrev_b32_e32 v77, 4, v77
	ds_store_b128 v77, v[52:55] offset:64
	ds_store_b128 v77, v[56:59] offset:80
	;; [unrolled: 1-line block ×4, first 2 shown]
	ds_store_b128 v77, v[60:63]
	ds_store_b128 v77, v[72:75] offset:16
	ds_store_b128 v77, v[68:71] offset:96
.LBB0_21:
	s_wait_alu 0xfffe
	s_or_b32 exec_lo, exec_lo, s1
	global_wb scope:SCOPE_SE
	s_wait_dscnt 0x0
	s_barrier_signal -1
	s_barrier_wait -1
	global_inv scope:SCOPE_SE
	ds_load_b128 v[60:63], v98
	ds_load_b128 v[64:67], v98 offset:1680
	ds_load_b128 v[68:71], v98 offset:3360
	s_and_saveexec_b32 s1, s0
	s_cbranch_execz .LBB0_23
; %bb.22:
	ds_load_b128 v[48:51], v98 offset:1008
	ds_load_b128 v[52:55], v98 offset:2688
	;; [unrolled: 1-line block ×3, first 2 shown]
.LBB0_23:
	s_wait_alu 0xfffe
	s_or_b32 exec_lo, exec_lo, s1
	s_wait_dscnt 0x1
	v_mul_f64_e32 v[72:73], v[6:7], v[66:67]
	s_wait_dscnt 0x0
	v_mul_f64_e32 v[74:75], v[2:3], v[70:71]
	v_mul_f64_e32 v[6:7], v[6:7], v[64:65]
	;; [unrolled: 1-line block ×7, first 2 shown]
	s_mov_b32 s2, 0xe8584caa
	s_mov_b32 s3, 0xbfebb67a
	;; [unrolled: 1-line block ×3, first 2 shown]
	s_wait_alu 0xfffe
	s_mov_b32 s10, s2
	global_wb scope:SCOPE_SE
	s_barrier_signal -1
	s_barrier_wait -1
	global_inv scope:SCOPE_SE
	v_fma_f64 v[64:65], v[4:5], v[64:65], v[72:73]
	v_fma_f64 v[68:69], v[0:1], v[68:69], v[74:75]
	v_fma_f64 v[4:5], v[4:5], v[66:67], -v[6:7]
	v_fma_f64 v[0:1], v[0:1], v[70:71], -v[2:3]
	v_fma_f64 v[2:3], v[12:13], v[52:53], v[77:78]
	v_fma_f64 v[6:7], v[8:9], v[56:57], v[79:80]
	v_fma_f64 v[12:13], v[12:13], v[54:55], -v[14:15]
	v_fma_f64 v[8:9], v[8:9], v[58:59], -v[10:11]
	v_add_f64_e32 v[56:57], v[60:61], v[64:65]
	v_add_f64_e32 v[10:11], v[64:65], v[68:69]
	;; [unrolled: 1-line block ×3, first 2 shown]
	v_add_f64_e64 v[58:59], v[4:5], -v[0:1]
	v_add_f64_e32 v[52:53], v[2:3], v[6:7]
	v_add_f64_e32 v[4:5], v[62:63], v[4:5]
	;; [unrolled: 1-line block ×5, first 2 shown]
	v_add_f64_e64 v[74:75], v[2:3], -v[6:7]
	v_fma_f64 v[10:11], v[10:11], -0.5, v[60:61]
	v_add_f64_e64 v[60:61], v[64:65], -v[68:69]
	v_add_f64_e64 v[64:65], v[12:13], -v[8:9]
	v_fma_f64 v[62:63], v[14:15], -0.5, v[62:63]
	v_fma_f64 v[72:73], v[52:53], -0.5, v[48:49]
	v_add_f64_e32 v[12:13], v[56:57], v[68:69]
	v_fma_f64 v[77:78], v[54:55], -0.5, v[50:51]
	v_add_f64_e32 v[14:15], v[4:5], v[0:1]
	v_add_f64_e32 v[0:1], v[66:67], v[6:7]
	;; [unrolled: 1-line block ×3, first 2 shown]
	v_fma_f64 v[48:49], v[58:59], s[2:3], v[10:11]
	s_wait_alu 0xfffe
	v_fma_f64 v[52:53], v[58:59], s[10:11], v[10:11]
	v_fma_f64 v[50:51], v[60:61], s[10:11], v[62:63]
	;; [unrolled: 1-line block ×7, first 2 shown]
	ds_store_b128 v102, v[12:15]
	ds_store_b128 v102, v[48:51] offset:112
	ds_store_b128 v102, v[52:55] offset:224
	s_and_saveexec_b32 s1, s0
	s_cbranch_execz .LBB0_25
; %bb.24:
	v_mul_u32_u24_e32 v12, 21, v103
	s_delay_alu instid0(VALU_DEP_1)
	v_add_lshl_u32 v12, v12, v99, 4
	ds_store_b128 v12, v[0:3]
	ds_store_b128 v12, v[4:7] offset:112
	ds_store_b128 v12, v[8:11] offset:224
.LBB0_25:
	s_wait_alu 0xfffe
	s_or_b32 exec_lo, exec_lo, s1
	global_wb scope:SCOPE_SE
	s_wait_dscnt 0x0
	s_barrier_signal -1
	s_barrier_wait -1
	global_inv scope:SCOPE_SE
	ds_load_b128 v[12:15], v98
	ds_load_b128 v[48:51], v98 offset:1680
	ds_load_b128 v[52:55], v98 offset:3360
	s_and_saveexec_b32 s1, s0
	s_cbranch_execz .LBB0_27
; %bb.26:
	ds_load_b128 v[0:3], v98 offset:1008
	ds_load_b128 v[4:7], v98 offset:2688
	;; [unrolled: 1-line block ×3, first 2 shown]
.LBB0_27:
	s_wait_alu 0xfffe
	s_or_b32 exec_lo, exec_lo, s1
	s_wait_dscnt 0x1
	v_mul_f64_e32 v[56:57], v[30:31], v[50:51]
	s_wait_dscnt 0x0
	v_mul_f64_e32 v[58:59], v[26:27], v[54:55]
	v_mul_f64_e32 v[30:31], v[30:31], v[48:49]
	v_mul_f64_e32 v[26:27], v[26:27], v[52:53]
	s_mov_b32 s10, s2
	global_wb scope:SCOPE_SE
	s_barrier_signal -1
	s_barrier_wait -1
	global_inv scope:SCOPE_SE
	v_fma_f64 v[48:49], v[28:29], v[48:49], v[56:57]
	v_fma_f64 v[52:53], v[24:25], v[52:53], v[58:59]
	v_fma_f64 v[28:29], v[28:29], v[50:51], -v[30:31]
	v_fma_f64 v[24:25], v[24:25], v[54:55], -v[26:27]
	s_delay_alu instid0(VALU_DEP_4) | instskip(NEXT) | instid1(VALU_DEP_4)
	v_add_f64_e32 v[50:51], v[12:13], v[48:49]
	v_add_f64_e32 v[26:27], v[48:49], v[52:53]
	v_add_f64_e64 v[48:49], v[48:49], -v[52:53]
	s_delay_alu instid0(VALU_DEP_4)
	v_add_f64_e32 v[30:31], v[28:29], v[24:25]
	v_add_f64_e64 v[54:55], v[28:29], -v[24:25]
	v_add_f64_e32 v[28:29], v[14:15], v[28:29]
	v_fma_f64 v[26:27], v[26:27], -0.5, v[12:13]
	v_add_f64_e32 v[12:13], v[50:51], v[52:53]
	v_fma_f64 v[30:31], v[30:31], -0.5, v[14:15]
	s_delay_alu instid0(VALU_DEP_4) | instskip(NEXT) | instid1(VALU_DEP_4)
	v_add_f64_e32 v[14:15], v[28:29], v[24:25]
	v_fma_f64 v[24:25], v[54:55], s[2:3], v[26:27]
	s_wait_alu 0xfffe
	v_fma_f64 v[28:29], v[54:55], s[10:11], v[26:27]
	s_delay_alu instid0(VALU_DEP_4)
	v_fma_f64 v[26:27], v[48:49], s[10:11], v[30:31]
	v_fma_f64 v[30:31], v[48:49], s[2:3], v[30:31]
	ds_store_b128 v105, v[12:15]
	ds_store_b128 v105, v[24:27] offset:336
	ds_store_b128 v105, v[28:31] offset:672
	s_and_saveexec_b32 s1, s0
	s_cbranch_execz .LBB0_29
; %bb.28:
	v_mul_f64_e32 v[12:13], v[22:23], v[4:5]
	v_mul_f64_e32 v[14:15], v[18:19], v[8:9]
	;; [unrolled: 1-line block ×4, first 2 shown]
	s_delay_alu instid0(VALU_DEP_4) | instskip(NEXT) | instid1(VALU_DEP_4)
	v_fma_f64 v[6:7], v[20:21], v[6:7], -v[12:13]
	v_fma_f64 v[10:11], v[16:17], v[10:11], -v[14:15]
	s_delay_alu instid0(VALU_DEP_4) | instskip(NEXT) | instid1(VALU_DEP_4)
	v_fma_f64 v[4:5], v[20:21], v[4:5], v[22:23]
	v_fma_f64 v[8:9], v[16:17], v[8:9], v[18:19]
	s_delay_alu instid0(VALU_DEP_4) | instskip(NEXT) | instid1(VALU_DEP_4)
	v_add_f64_e32 v[18:19], v[2:3], v[6:7]
	v_add_f64_e32 v[12:13], v[6:7], v[10:11]
	v_add_f64_e64 v[20:21], v[6:7], -v[10:11]
	s_delay_alu instid0(VALU_DEP_4)
	v_add_f64_e32 v[14:15], v[4:5], v[8:9]
	v_add_f64_e64 v[16:17], v[4:5], -v[8:9]
	v_add_f64_e32 v[4:5], v[0:1], v[4:5]
	v_fma_f64 v[12:13], v[12:13], -0.5, v[2:3]
	v_add_f64_e32 v[2:3], v[18:19], v[10:11]
	v_fma_f64 v[14:15], v[14:15], -0.5, v[0:1]
	s_delay_alu instid0(VALU_DEP_4) | instskip(NEXT) | instid1(VALU_DEP_4)
	v_add_f64_e32 v[0:1], v[4:5], v[8:9]
	v_fma_f64 v[10:11], v[16:17], s[10:11], v[12:13]
	v_fma_f64 v[6:7], v[16:17], s[2:3], v[12:13]
	s_delay_alu instid0(VALU_DEP_4) | instskip(SKIP_2) | instid1(VALU_DEP_1)
	v_fma_f64 v[8:9], v[20:21], s[2:3], v[14:15]
	v_fma_f64 v[4:5], v[20:21], s[10:11], v[14:15]
	v_mul_u32_u24_e32 v12, 63, v104
	v_add_lshl_u32 v12, v12, v101, 4
	ds_store_b128 v12, v[0:3]
	ds_store_b128 v12, v[8:11] offset:336
	ds_store_b128 v12, v[4:7] offset:672
.LBB0_29:
	s_wait_alu 0xfffe
	s_or_b32 exec_lo, exec_lo, s1
	global_wb scope:SCOPE_SE
	s_wait_dscnt 0x0
	s_barrier_signal -1
	s_barrier_wait -1
	global_inv scope:SCOPE_SE
	ds_load_b128 v[0:3], v98 offset:1008
	ds_load_b128 v[4:7], v98 offset:2016
	;; [unrolled: 1-line block ×4, first 2 shown]
	s_mov_b32 s0, 0x134454ff
	s_mov_b32 s1, 0xbfee6f0e
	;; [unrolled: 1-line block ×3, first 2 shown]
	s_wait_alu 0xfffe
	s_mov_b32 s2, s0
	s_wait_dscnt 0x3
	v_mul_f64_e32 v[16:17], v[46:47], v[2:3]
	s_wait_dscnt 0x2
	v_mul_f64_e32 v[18:19], v[42:43], v[6:7]
	;; [unrolled: 2-line block ×4, first 2 shown]
	v_mul_f64_e32 v[26:27], v[42:43], v[4:5]
	v_mul_f64_e32 v[28:29], v[38:39], v[8:9]
	;; [unrolled: 1-line block ×4, first 2 shown]
	v_fma_f64 v[16:17], v[44:45], v[0:1], v[16:17]
	v_fma_f64 v[4:5], v[40:41], v[4:5], v[18:19]
	;; [unrolled: 1-line block ×4, first 2 shown]
	v_fma_f64 v[6:7], v[40:41], v[6:7], -v[26:27]
	v_fma_f64 v[10:11], v[36:37], v[10:11], -v[28:29]
	;; [unrolled: 1-line block ×4, first 2 shown]
	ds_load_b128 v[0:3], v98
	s_wait_dscnt 0x0
	v_add_f64_e32 v[28:29], v[0:1], v[16:17]
	v_add_f64_e32 v[20:21], v[4:5], v[8:9]
	;; [unrolled: 1-line block ×3, first 2 shown]
	v_add_f64_e64 v[36:37], v[16:17], -v[12:13]
	v_add_f64_e32 v[24:25], v[6:7], v[10:11]
	v_add_f64_e32 v[34:35], v[2:3], v[18:19]
	;; [unrolled: 1-line block ×3, first 2 shown]
	v_add_f64_e64 v[30:31], v[18:19], -v[14:15]
	v_add_f64_e64 v[32:33], v[6:7], -v[10:11]
	;; [unrolled: 1-line block ×8, first 2 shown]
	v_fma_f64 v[20:21], v[20:21], -0.5, v[0:1]
	v_fma_f64 v[0:1], v[22:23], -0.5, v[0:1]
	v_add_f64_e64 v[22:23], v[4:5], -v[8:9]
	v_fma_f64 v[24:25], v[24:25], -0.5, v[2:3]
	v_add_f64_e32 v[6:7], v[34:35], v[6:7]
	v_fma_f64 v[2:3], v[26:27], -0.5, v[2:3]
	v_add_f64_e64 v[26:27], v[16:17], -v[4:5]
	v_add_f64_e64 v[16:17], v[4:5], -v[16:17]
	v_add_f64_e32 v[4:5], v[28:29], v[4:5]
	v_add_f64_e32 v[18:19], v[18:19], v[46:47]
	v_fma_f64 v[28:29], v[30:31], s[0:1], v[20:21]
	s_wait_alu 0xfffe
	v_fma_f64 v[20:21], v[30:31], s[2:3], v[20:21]
	v_fma_f64 v[34:35], v[32:33], s[2:3], v[0:1]
	;; [unrolled: 1-line block ×7, first 2 shown]
	s_mov_b32 s0, 0x4755a5e
	s_mov_b32 s1, 0xbfe2cf23
	;; [unrolled: 1-line block ×3, first 2 shown]
	s_wait_alu 0xfffe
	s_mov_b32 s2, s0
	v_add_f64_e32 v[4:5], v[4:5], v[8:9]
	v_add_f64_e32 v[6:7], v[6:7], v[10:11]
	;; [unrolled: 1-line block ×5, first 2 shown]
	v_fma_f64 v[8:9], v[32:33], s[0:1], v[28:29]
	s_wait_alu 0xfffe
	v_fma_f64 v[10:11], v[32:33], s[2:3], v[20:21]
	v_fma_f64 v[20:21], v[30:31], s[0:1], v[34:35]
	;; [unrolled: 1-line block ×7, first 2 shown]
	s_mov_b32 s0, 0x372fe950
	s_mov_b32 s1, 0x3fd3c6ef
	v_add_f64_e32 v[0:1], v[4:5], v[12:13]
	v_add_f64_e32 v[2:3], v[6:7], v[14:15]
	s_wait_alu 0xfffe
	v_fma_f64 v[4:5], v[26:27], s[0:1], v[8:9]
	v_fma_f64 v[8:9], v[26:27], s[0:1], v[10:11]
	;; [unrolled: 1-line block ×8, first 2 shown]
	ds_store_b128 v98, v[0:3]
	ds_store_b128 v98, v[4:7] offset:1008
	ds_store_b128 v98, v[12:15] offset:2016
	;; [unrolled: 1-line block ×4, first 2 shown]
	global_wb scope:SCOPE_SE
	s_wait_dscnt 0x0
	s_barrier_signal -1
	s_barrier_wait -1
	global_inv scope:SCOPE_SE
	s_and_b32 exec_lo, exec_lo, vcc_lo
	s_cbranch_execz .LBB0_31
; %bb.30:
	s_clause 0x6
	global_load_b128 v[0:3], v98, s[12:13]
	global_load_b128 v[4:7], v98, s[12:13] offset:720
	global_load_b128 v[8:11], v98, s[12:13] offset:1440
	;; [unrolled: 1-line block ×6, first 2 shown]
	ds_load_b128 v[28:31], v98
	ds_load_b128 v[32:35], v98 offset:720
	ds_load_b128 v[36:39], v98 offset:1440
	;; [unrolled: 1-line block ×6, first 2 shown]
	v_mad_co_u64_u32 v[70:71], null, s6, v76, 0
	v_mad_co_u64_u32 v[72:73], null, s4, v97, 0
	s_mov_b32 s0, 0x1a01a01a
	s_mov_b32 s1, 0x3f6a01a0
	s_wait_loadcnt_dscnt 0x606
	v_mul_f64_e32 v[56:57], v[30:31], v[2:3]
	v_mul_f64_e32 v[2:3], v[28:29], v[2:3]
	s_wait_loadcnt_dscnt 0x505
	v_mul_f64_e32 v[58:59], v[34:35], v[6:7]
	v_mul_f64_e32 v[6:7], v[32:33], v[6:7]
	;; [unrolled: 3-line block ×7, first 2 shown]
	v_fma_f64 v[28:29], v[28:29], v[0:1], v[56:57]
	v_fma_f64 v[2:3], v[0:1], v[30:31], -v[2:3]
	v_fma_f64 v[30:31], v[32:33], v[4:5], v[58:59]
	v_fma_f64 v[6:7], v[4:5], v[34:35], -v[6:7]
	;; [unrolled: 2-line block ×7, first 2 shown]
	v_mad_co_u64_u32 v[4:5], null, s7, v76, v[71:72]
	s_delay_alu instid0(VALU_DEP_1) | instskip(NEXT) | instid1(VALU_DEP_1)
	v_dual_mov_b32 v0, v73 :: v_dual_mov_b32 v71, v4
	v_mad_co_u64_u32 v[0:1], null, s5, v97, v[0:1]
	s_delay_alu instid0(VALU_DEP_1) | instskip(NEXT) | instid1(VALU_DEP_3)
	v_mov_b32_e32 v73, v0
	v_lshlrev_b64_e32 v[0:1], 4, v[70:71]
	s_delay_alu instid0(VALU_DEP_2) | instskip(NEXT) | instid1(VALU_DEP_2)
	v_lshlrev_b64_e32 v[42:43], 4, v[72:73]
	v_add_co_u32 v44, vcc_lo, s8, v0
	s_delay_alu instid0(VALU_DEP_3)
	v_add_co_ci_u32_e32 v45, vcc_lo, s9, v1, vcc_lo
	s_wait_alu 0xfffe
	v_mul_f64_e32 v[0:1], s[0:1], v[28:29]
	v_mul_f64_e32 v[2:3], s[0:1], v[2:3]
	;; [unrolled: 1-line block ×14, first 2 shown]
	v_add_co_u32 v28, vcc_lo, v44, v42
	s_wait_alu 0xfffd
	v_add_co_ci_u32_e32 v29, vcc_lo, v45, v43, vcc_lo
	s_mul_u64 s[0:1], s[4:5], 0x2d0
	s_wait_alu 0xfffe
	v_add_co_u32 v30, vcc_lo, v28, s0
	s_wait_alu 0xfffd
	v_add_co_ci_u32_e32 v31, vcc_lo, s1, v29, vcc_lo
	s_delay_alu instid0(VALU_DEP_2) | instskip(SKIP_1) | instid1(VALU_DEP_2)
	v_add_co_u32 v32, vcc_lo, v30, s0
	s_wait_alu 0xfffd
	v_add_co_ci_u32_e32 v33, vcc_lo, s1, v31, vcc_lo
	s_delay_alu instid0(VALU_DEP_2) | instskip(SKIP_1) | instid1(VALU_DEP_2)
	;; [unrolled: 4-line block ×5, first 2 shown]
	v_add_co_u32 v40, vcc_lo, v38, s0
	s_wait_alu 0xfffd
	v_add_co_ci_u32_e32 v41, vcc_lo, s1, v39, vcc_lo
	s_clause 0x4
	global_store_b128 v[28:29], v[0:3], off
	global_store_b128 v[30:31], v[4:7], off
	;; [unrolled: 1-line block ×7, first 2 shown]
.LBB0_31:
	s_nop 0
	s_sendmsg sendmsg(MSG_DEALLOC_VGPRS)
	s_endpgm
	.section	.rodata,"a",@progbits
	.p2align	6, 0x0
	.amdhsa_kernel bluestein_single_back_len315_dim1_dp_op_CI_CI
		.amdhsa_group_segment_fixed_size 5040
		.amdhsa_private_segment_fixed_size 0
		.amdhsa_kernarg_size 104
		.amdhsa_user_sgpr_count 2
		.amdhsa_user_sgpr_dispatch_ptr 0
		.amdhsa_user_sgpr_queue_ptr 0
		.amdhsa_user_sgpr_kernarg_segment_ptr 1
		.amdhsa_user_sgpr_dispatch_id 0
		.amdhsa_user_sgpr_private_segment_size 0
		.amdhsa_wavefront_size32 1
		.amdhsa_uses_dynamic_stack 0
		.amdhsa_enable_private_segment 0
		.amdhsa_system_sgpr_workgroup_id_x 1
		.amdhsa_system_sgpr_workgroup_id_y 0
		.amdhsa_system_sgpr_workgroup_id_z 0
		.amdhsa_system_sgpr_workgroup_info 0
		.amdhsa_system_vgpr_workitem_id 0
		.amdhsa_next_free_vgpr 158
		.amdhsa_next_free_sgpr 18
		.amdhsa_reserve_vcc 1
		.amdhsa_float_round_mode_32 0
		.amdhsa_float_round_mode_16_64 0
		.amdhsa_float_denorm_mode_32 3
		.amdhsa_float_denorm_mode_16_64 3
		.amdhsa_fp16_overflow 0
		.amdhsa_workgroup_processor_mode 1
		.amdhsa_memory_ordered 1
		.amdhsa_forward_progress 0
		.amdhsa_round_robin_scheduling 0
		.amdhsa_exception_fp_ieee_invalid_op 0
		.amdhsa_exception_fp_denorm_src 0
		.amdhsa_exception_fp_ieee_div_zero 0
		.amdhsa_exception_fp_ieee_overflow 0
		.amdhsa_exception_fp_ieee_underflow 0
		.amdhsa_exception_fp_ieee_inexact 0
		.amdhsa_exception_int_div_zero 0
	.end_amdhsa_kernel
	.text
.Lfunc_end0:
	.size	bluestein_single_back_len315_dim1_dp_op_CI_CI, .Lfunc_end0-bluestein_single_back_len315_dim1_dp_op_CI_CI
                                        ; -- End function
	.section	.AMDGPU.csdata,"",@progbits
; Kernel info:
; codeLenInByte = 8148
; NumSgprs: 20
; NumVgprs: 158
; ScratchSize: 0
; MemoryBound: 0
; FloatMode: 240
; IeeeMode: 1
; LDSByteSize: 5040 bytes/workgroup (compile time only)
; SGPRBlocks: 2
; VGPRBlocks: 19
; NumSGPRsForWavesPerEU: 20
; NumVGPRsForWavesPerEU: 158
; Occupancy: 9
; WaveLimiterHint : 1
; COMPUTE_PGM_RSRC2:SCRATCH_EN: 0
; COMPUTE_PGM_RSRC2:USER_SGPR: 2
; COMPUTE_PGM_RSRC2:TRAP_HANDLER: 0
; COMPUTE_PGM_RSRC2:TGID_X_EN: 1
; COMPUTE_PGM_RSRC2:TGID_Y_EN: 0
; COMPUTE_PGM_RSRC2:TGID_Z_EN: 0
; COMPUTE_PGM_RSRC2:TIDIG_COMP_CNT: 0
	.text
	.p2alignl 7, 3214868480
	.fill 96, 4, 3214868480
	.type	__hip_cuid_d2466b0fb5dc8c68,@object ; @__hip_cuid_d2466b0fb5dc8c68
	.section	.bss,"aw",@nobits
	.globl	__hip_cuid_d2466b0fb5dc8c68
__hip_cuid_d2466b0fb5dc8c68:
	.byte	0                               ; 0x0
	.size	__hip_cuid_d2466b0fb5dc8c68, 1

	.ident	"AMD clang version 19.0.0git (https://github.com/RadeonOpenCompute/llvm-project roc-6.4.0 25133 c7fe45cf4b819c5991fe208aaa96edf142730f1d)"
	.section	".note.GNU-stack","",@progbits
	.addrsig
	.addrsig_sym __hip_cuid_d2466b0fb5dc8c68
	.amdgpu_metadata
---
amdhsa.kernels:
  - .args:
      - .actual_access:  read_only
        .address_space:  global
        .offset:         0
        .size:           8
        .value_kind:     global_buffer
      - .actual_access:  read_only
        .address_space:  global
        .offset:         8
        .size:           8
        .value_kind:     global_buffer
      - .actual_access:  read_only
        .address_space:  global
        .offset:         16
        .size:           8
        .value_kind:     global_buffer
      - .actual_access:  read_only
        .address_space:  global
        .offset:         24
        .size:           8
        .value_kind:     global_buffer
      - .actual_access:  read_only
        .address_space:  global
        .offset:         32
        .size:           8
        .value_kind:     global_buffer
      - .offset:         40
        .size:           8
        .value_kind:     by_value
      - .address_space:  global
        .offset:         48
        .size:           8
        .value_kind:     global_buffer
      - .address_space:  global
        .offset:         56
        .size:           8
        .value_kind:     global_buffer
      - .address_space:  global
        .offset:         64
        .size:           8
        .value_kind:     global_buffer
      - .address_space:  global
        .offset:         72
        .size:           8
        .value_kind:     global_buffer
      - .offset:         80
        .size:           4
        .value_kind:     by_value
      - .address_space:  global
        .offset:         88
        .size:           8
        .value_kind:     global_buffer
      - .address_space:  global
        .offset:         96
        .size:           8
        .value_kind:     global_buffer
    .group_segment_fixed_size: 5040
    .kernarg_segment_align: 8
    .kernarg_segment_size: 104
    .language:       OpenCL C
    .language_version:
      - 2
      - 0
    .max_flat_workgroup_size: 63
    .name:           bluestein_single_back_len315_dim1_dp_op_CI_CI
    .private_segment_fixed_size: 0
    .sgpr_count:     20
    .sgpr_spill_count: 0
    .symbol:         bluestein_single_back_len315_dim1_dp_op_CI_CI.kd
    .uniform_work_group_size: 1
    .uses_dynamic_stack: false
    .vgpr_count:     158
    .vgpr_spill_count: 0
    .wavefront_size: 32
    .workgroup_processor_mode: 1
amdhsa.target:   amdgcn-amd-amdhsa--gfx1201
amdhsa.version:
  - 1
  - 2
...

	.end_amdgpu_metadata
